;; amdgpu-corpus repo=ROCm/rocFFT kind=compiled arch=gfx906 opt=O3
	.text
	.amdgcn_target "amdgcn-amd-amdhsa--gfx906"
	.amdhsa_code_object_version 6
	.protected	fft_rtc_back_len384_factors_6_4_4_4_wgs_128_tpt_32_halfLds_sp_ip_CI_unitstride_sbrr_R2C_dirReg ; -- Begin function fft_rtc_back_len384_factors_6_4_4_4_wgs_128_tpt_32_halfLds_sp_ip_CI_unitstride_sbrr_R2C_dirReg
	.globl	fft_rtc_back_len384_factors_6_4_4_4_wgs_128_tpt_32_halfLds_sp_ip_CI_unitstride_sbrr_R2C_dirReg
	.p2align	8
	.type	fft_rtc_back_len384_factors_6_4_4_4_wgs_128_tpt_32_halfLds_sp_ip_CI_unitstride_sbrr_R2C_dirReg,@function
fft_rtc_back_len384_factors_6_4_4_4_wgs_128_tpt_32_halfLds_sp_ip_CI_unitstride_sbrr_R2C_dirReg: ; @fft_rtc_back_len384_factors_6_4_4_4_wgs_128_tpt_32_halfLds_sp_ip_CI_unitstride_sbrr_R2C_dirReg
; %bb.0:
	s_load_dwordx2 s[2:3], s[4:5], 0x50
	s_load_dwordx4 s[8:11], s[4:5], 0x0
	s_load_dwordx2 s[12:13], s[4:5], 0x18
	v_lshrrev_b32_e32 v9, 5, v0
	v_mov_b32_e32 v3, 0
	v_mov_b32_e32 v1, 0
	s_waitcnt lgkmcnt(0)
	v_cmp_lt_u64_e64 s[0:1], s[10:11], 2
	v_lshl_or_b32 v5, s6, 2, v9
	v_mov_b32_e32 v6, v3
	s_and_b64 vcc, exec, s[0:1]
	v_mov_b32_e32 v2, 0
	s_cbranch_vccnz .LBB0_8
; %bb.1:
	s_load_dwordx2 s[0:1], s[4:5], 0x10
	s_add_u32 s6, s12, 8
	s_addc_u32 s7, s13, 0
	v_mov_b32_e32 v1, 0
	v_mov_b32_e32 v2, 0
	s_waitcnt lgkmcnt(0)
	s_add_u32 s14, s0, 8
	s_addc_u32 s15, s1, 0
	s_mov_b64 s[16:17], 1
.LBB0_2:                                ; =>This Inner Loop Header: Depth=1
	s_load_dwordx2 s[18:19], s[14:15], 0x0
                                        ; implicit-def: $vgpr7_vgpr8
	s_waitcnt lgkmcnt(0)
	v_or_b32_e32 v4, s19, v6
	v_cmp_ne_u64_e32 vcc, 0, v[3:4]
	s_and_saveexec_b64 s[0:1], vcc
	s_xor_b64 s[20:21], exec, s[0:1]
	s_cbranch_execz .LBB0_4
; %bb.3:                                ;   in Loop: Header=BB0_2 Depth=1
	v_cvt_f32_u32_e32 v4, s18
	v_cvt_f32_u32_e32 v7, s19
	s_sub_u32 s0, 0, s18
	s_subb_u32 s1, 0, s19
	v_mac_f32_e32 v4, 0x4f800000, v7
	v_rcp_f32_e32 v4, v4
	v_mul_f32_e32 v4, 0x5f7ffffc, v4
	v_mul_f32_e32 v7, 0x2f800000, v4
	v_trunc_f32_e32 v7, v7
	v_mac_f32_e32 v4, 0xcf800000, v7
	v_cvt_u32_f32_e32 v7, v7
	v_cvt_u32_f32_e32 v4, v4
	v_mul_lo_u32 v8, s0, v7
	v_mul_hi_u32 v10, s0, v4
	v_mul_lo_u32 v12, s1, v4
	v_mul_lo_u32 v11, s0, v4
	v_add_u32_e32 v8, v10, v8
	v_add_u32_e32 v8, v8, v12
	v_mul_hi_u32 v10, v4, v11
	v_mul_lo_u32 v12, v4, v8
	v_mul_hi_u32 v14, v4, v8
	v_mul_hi_u32 v13, v7, v11
	v_mul_lo_u32 v11, v7, v11
	v_mul_hi_u32 v15, v7, v8
	v_add_co_u32_e32 v10, vcc, v10, v12
	v_addc_co_u32_e32 v12, vcc, 0, v14, vcc
	v_mul_lo_u32 v8, v7, v8
	v_add_co_u32_e32 v10, vcc, v10, v11
	v_addc_co_u32_e32 v10, vcc, v12, v13, vcc
	v_addc_co_u32_e32 v11, vcc, 0, v15, vcc
	v_add_co_u32_e32 v8, vcc, v10, v8
	v_addc_co_u32_e32 v10, vcc, 0, v11, vcc
	v_add_co_u32_e32 v4, vcc, v4, v8
	v_addc_co_u32_e32 v7, vcc, v7, v10, vcc
	v_mul_lo_u32 v8, s0, v7
	v_mul_hi_u32 v10, s0, v4
	v_mul_lo_u32 v11, s1, v4
	v_mul_lo_u32 v12, s0, v4
	v_add_u32_e32 v8, v10, v8
	v_add_u32_e32 v8, v8, v11
	v_mul_lo_u32 v13, v4, v8
	v_mul_hi_u32 v14, v4, v12
	v_mul_hi_u32 v15, v4, v8
	;; [unrolled: 1-line block ×3, first 2 shown]
	v_mul_lo_u32 v12, v7, v12
	v_mul_hi_u32 v10, v7, v8
	v_add_co_u32_e32 v13, vcc, v14, v13
	v_addc_co_u32_e32 v14, vcc, 0, v15, vcc
	v_mul_lo_u32 v8, v7, v8
	v_add_co_u32_e32 v12, vcc, v13, v12
	v_addc_co_u32_e32 v11, vcc, v14, v11, vcc
	v_addc_co_u32_e32 v10, vcc, 0, v10, vcc
	v_add_co_u32_e32 v8, vcc, v11, v8
	v_addc_co_u32_e32 v10, vcc, 0, v10, vcc
	v_add_co_u32_e32 v4, vcc, v4, v8
	v_addc_co_u32_e32 v10, vcc, v7, v10, vcc
	v_mad_u64_u32 v[7:8], s[0:1], v5, v10, 0
	v_mul_hi_u32 v11, v5, v4
	v_add_co_u32_e32 v12, vcc, v11, v7
	v_addc_co_u32_e32 v13, vcc, 0, v8, vcc
	v_mad_u64_u32 v[7:8], s[0:1], v6, v4, 0
	v_mad_u64_u32 v[10:11], s[0:1], v6, v10, 0
	v_add_co_u32_e32 v4, vcc, v12, v7
	v_addc_co_u32_e32 v4, vcc, v13, v8, vcc
	v_addc_co_u32_e32 v7, vcc, 0, v11, vcc
	v_add_co_u32_e32 v4, vcc, v4, v10
	v_addc_co_u32_e32 v10, vcc, 0, v7, vcc
	v_mul_lo_u32 v11, s19, v4
	v_mul_lo_u32 v12, s18, v10
	v_mad_u64_u32 v[7:8], s[0:1], s18, v4, 0
	v_add3_u32 v8, v8, v12, v11
	v_sub_u32_e32 v11, v6, v8
	v_mov_b32_e32 v12, s19
	v_sub_co_u32_e32 v7, vcc, v5, v7
	v_subb_co_u32_e64 v11, s[0:1], v11, v12, vcc
	v_subrev_co_u32_e64 v12, s[0:1], s18, v7
	v_subbrev_co_u32_e64 v11, s[0:1], 0, v11, s[0:1]
	v_cmp_le_u32_e64 s[0:1], s19, v11
	v_cndmask_b32_e64 v13, 0, -1, s[0:1]
	v_cmp_le_u32_e64 s[0:1], s18, v12
	v_cndmask_b32_e64 v12, 0, -1, s[0:1]
	v_cmp_eq_u32_e64 s[0:1], s19, v11
	v_cndmask_b32_e64 v11, v13, v12, s[0:1]
	v_add_co_u32_e64 v12, s[0:1], 2, v4
	v_addc_co_u32_e64 v13, s[0:1], 0, v10, s[0:1]
	v_add_co_u32_e64 v14, s[0:1], 1, v4
	v_addc_co_u32_e64 v15, s[0:1], 0, v10, s[0:1]
	v_subb_co_u32_e32 v8, vcc, v6, v8, vcc
	v_cmp_ne_u32_e64 s[0:1], 0, v11
	v_cmp_le_u32_e32 vcc, s19, v8
	v_cndmask_b32_e64 v11, v15, v13, s[0:1]
	v_cndmask_b32_e64 v13, 0, -1, vcc
	v_cmp_le_u32_e32 vcc, s18, v7
	v_cndmask_b32_e64 v7, 0, -1, vcc
	v_cmp_eq_u32_e32 vcc, s19, v8
	v_cndmask_b32_e32 v7, v13, v7, vcc
	v_cmp_ne_u32_e32 vcc, 0, v7
	v_cndmask_b32_e64 v7, v14, v12, s[0:1]
	v_cndmask_b32_e32 v8, v10, v11, vcc
	v_cndmask_b32_e32 v7, v4, v7, vcc
.LBB0_4:                                ;   in Loop: Header=BB0_2 Depth=1
	s_andn2_saveexec_b64 s[0:1], s[20:21]
	s_cbranch_execz .LBB0_6
; %bb.5:                                ;   in Loop: Header=BB0_2 Depth=1
	v_cvt_f32_u32_e32 v4, s18
	s_sub_i32 s20, 0, s18
	v_rcp_iflag_f32_e32 v4, v4
	v_mul_f32_e32 v4, 0x4f7ffffe, v4
	v_cvt_u32_f32_e32 v4, v4
	v_mul_lo_u32 v7, s20, v4
	v_mul_hi_u32 v7, v4, v7
	v_add_u32_e32 v4, v4, v7
	v_mul_hi_u32 v4, v5, v4
	v_mul_lo_u32 v7, v4, s18
	v_add_u32_e32 v8, 1, v4
	v_sub_u32_e32 v7, v5, v7
	v_subrev_u32_e32 v10, s18, v7
	v_cmp_le_u32_e32 vcc, s18, v7
	v_cndmask_b32_e32 v7, v7, v10, vcc
	v_cndmask_b32_e32 v4, v4, v8, vcc
	v_add_u32_e32 v8, 1, v4
	v_cmp_le_u32_e32 vcc, s18, v7
	v_cndmask_b32_e32 v7, v4, v8, vcc
	v_mov_b32_e32 v8, v3
.LBB0_6:                                ;   in Loop: Header=BB0_2 Depth=1
	s_or_b64 exec, exec, s[0:1]
	v_mul_lo_u32 v4, v8, s18
	v_mul_lo_u32 v12, v7, s19
	v_mad_u64_u32 v[10:11], s[0:1], v7, s18, 0
	s_load_dwordx2 s[0:1], s[6:7], 0x0
	s_add_u32 s16, s16, 1
	v_add3_u32 v4, v11, v12, v4
	v_sub_co_u32_e32 v5, vcc, v5, v10
	v_subb_co_u32_e32 v4, vcc, v6, v4, vcc
	s_waitcnt lgkmcnt(0)
	v_mul_lo_u32 v4, s0, v4
	v_mul_lo_u32 v6, s1, v5
	v_mad_u64_u32 v[1:2], s[0:1], s0, v5, v[1:2]
	s_addc_u32 s17, s17, 0
	s_add_u32 s6, s6, 8
	v_add3_u32 v2, v6, v2, v4
	v_mov_b32_e32 v4, s10
	v_mov_b32_e32 v5, s11
	s_addc_u32 s7, s7, 0
	v_cmp_ge_u64_e32 vcc, s[16:17], v[4:5]
	s_add_u32 s14, s14, 8
	s_addc_u32 s15, s15, 0
	s_cbranch_vccnz .LBB0_9
; %bb.7:                                ;   in Loop: Header=BB0_2 Depth=1
	v_mov_b32_e32 v5, v7
	v_mov_b32_e32 v6, v8
	s_branch .LBB0_2
.LBB0_8:
	v_mov_b32_e32 v8, v6
	v_mov_b32_e32 v7, v5
.LBB0_9:
	s_lshl_b64 s[0:1], s[10:11], 3
	s_add_u32 s0, s12, s0
	s_addc_u32 s1, s13, s1
	s_load_dwordx2 s[6:7], s[0:1], 0x0
	s_load_dwordx2 s[10:11], s[4:5], 0x20
	v_and_b32_e32 v0, 31, v0
	v_or_b32_e32 v6, 64, v0
	s_waitcnt lgkmcnt(0)
	v_mul_lo_u32 v3, s6, v8
	v_mul_lo_u32 v4, s7, v7
	v_mad_u64_u32 v[1:2], s[0:1], s6, v7, v[1:2]
	v_cmp_gt_u64_e32 vcc, s[10:11], v[7:8]
	v_cmp_le_u64_e64 s[0:1], s[10:11], v[7:8]
	v_add3_u32 v2, v4, v2, v3
	v_or_b32_e32 v4, 32, v0
	s_and_saveexec_b64 s[4:5], s[0:1]
	s_xor_b64 s[0:1], exec, s[4:5]
; %bb.10:
	v_or_b32_e32 v4, 32, v0
	v_or_b32_e32 v6, 64, v0
; %bb.11:
	s_or_saveexec_b64 s[4:5], s[0:1]
	v_mul_u32_u24_e32 v5, 0x181, v9
	v_lshlrev_b64 v[2:3], 3, v[1:2]
	v_lshlrev_b32_e32 v1, 3, v0
	v_lshlrev_b32_e32 v5, 3, v5
	s_xor_b64 exec, exec, s[4:5]
	s_cbranch_execz .LBB0_13
; %bb.12:
	v_mov_b32_e32 v7, s3
	v_add_co_u32_e64 v8, s[0:1], s2, v2
	v_addc_co_u32_e64 v9, s[0:1], v7, v3, s[0:1]
	v_add_co_u32_e64 v7, s[0:1], v8, v1
	v_addc_co_u32_e64 v8, s[0:1], 0, v9, s[0:1]
	global_load_dwordx2 v[9:10], v[7:8], off
	global_load_dwordx2 v[11:12], v[7:8], off offset:256
	global_load_dwordx2 v[13:14], v[7:8], off offset:512
	;; [unrolled: 1-line block ×11, first 2 shown]
	v_add3_u32 v7, 0, v5, v1
	v_add_u32_e32 v8, 0x800, v7
	s_waitcnt vmcnt(10)
	ds_write2_b64 v7, v[9:10], v[11:12] offset1:32
	s_waitcnt vmcnt(8)
	ds_write2_b64 v7, v[13:14], v[15:16] offset0:64 offset1:96
	s_waitcnt vmcnt(6)
	ds_write2_b64 v7, v[17:18], v[19:20] offset0:128 offset1:160
	;; [unrolled: 2-line block ×3, first 2 shown]
	s_waitcnt vmcnt(2)
	ds_write2_b64 v8, v[25:26], v[27:28] offset1:32
	s_waitcnt vmcnt(0)
	ds_write2_b64 v8, v[29:30], v[31:32] offset0:64 offset1:96
.LBB0_13:
	s_or_b64 exec, exec, s[4:5]
	v_add_u32_e32 v16, 0, v5
	v_add3_u32 v5, 0, v1, v5
	s_waitcnt lgkmcnt(0)
	s_barrier
	ds_read2_b64 v[11:14], v5 offset0:96 offset1:128
	v_add_u32_e32 v9, 0x400, v5
	v_add_u32_e32 v15, v16, v1
	ds_read2_b64 v[17:20], v9 offset0:96 offset1:128
	ds_read2_b64 v[21:24], v5 offset0:160 offset1:192
	ds_read_b64 v[7:8], v15
	v_add_u32_e32 v10, 0x800, v5
	ds_read2_b64 v[25:28], v10 offset0:32 offset1:64
	ds_read2_b64 v[29:32], v5 offset0:32 offset1:64
	ds_read_b64 v[33:34], v5 offset:2816
	s_waitcnt lgkmcnt(5)
	v_add_f32_e32 v36, v14, v20
	v_add_f32_e32 v43, v13, v19
	s_waitcnt lgkmcnt(2)
	v_add_f32_e32 v39, v24, v28
	v_add_f32_e32 v35, v8, v14
	v_fmac_f32_e32 v8, -0.5, v36
	v_add_f32_e32 v36, v23, v27
	s_waitcnt lgkmcnt(1)
	v_fma_f32 v39, -0.5, v39, v32
	v_fma_f32 v36, -0.5, v36, v31
	v_sub_f32_e32 v40, v23, v27
	v_mov_b32_e32 v41, v39
	v_sub_f32_e32 v37, v24, v28
	v_mov_b32_e32 v38, v36
	v_fmac_f32_e32 v41, 0x3f5db3d7, v40
	v_fmac_f32_e32 v38, 0xbf5db3d7, v37
	v_mul_f32_e32 v42, 0xbf5db3d7, v41
	v_mul_f32_e32 v41, 0.5, v41
	v_fmac_f32_e32 v42, 0.5, v38
	v_fmac_f32_e32 v41, 0x3f5db3d7, v38
	v_add_f32_e32 v38, v7, v13
	v_fma_f32 v7, -0.5, v43, v7
	v_sub_f32_e32 v45, v13, v19
	v_add_f32_e32 v13, v31, v23
	v_sub_f32_e32 v43, v14, v20
	v_mov_b32_e32 v44, v7
	v_mov_b32_e32 v46, v8
	v_add_f32_e32 v23, v13, v27
	v_add_f32_e32 v13, v32, v24
	;; [unrolled: 1-line block ×3, first 2 shown]
	v_fmac_f32_e32 v44, 0xbf5db3d7, v43
	v_add_f32_e32 v35, v35, v20
	v_fmac_f32_e32 v46, 0x3f5db3d7, v45
	v_add_f32_e32 v24, v13, v28
	v_add_f32_e32 v13, v38, v23
	;; [unrolled: 1-line block ×5, first 2 shown]
	v_mad_u32_u24 v27, v0, 40, v5
	v_fmac_f32_e32 v39, 0xbf5db3d7, v40
	s_waitcnt lgkmcnt(0)
	s_barrier
	ds_write2_b64 v27, v[13:14], v[19:20] offset1:1
	v_sub_f32_e32 v13, v38, v23
	v_sub_f32_e32 v14, v35, v24
	v_fmac_f32_e32 v36, 0x3f5db3d7, v37
	v_mul_f32_e32 v23, 0xbf5db3d7, v39
	v_mul_f32_e32 v24, -0.5, v39
	v_fmac_f32_e32 v7, 0x3f5db3d7, v43
	v_fmac_f32_e32 v8, 0xbf5db3d7, v45
	v_fmac_f32_e32 v23, -0.5, v36
	v_fmac_f32_e32 v24, 0x3f5db3d7, v36
	v_add_f32_e32 v19, v7, v23
	v_add_f32_e32 v20, v8, v24
	ds_write2_b64 v27, v[19:20], v[13:14] offset0:2 offset1:3
	v_sub_f32_e32 v8, v8, v24
	v_sub_f32_e32 v7, v7, v23
	;; [unrolled: 1-line block ×4, first 2 shown]
	ds_write2_b64 v27, v[13:14], v[7:8] offset0:4 offset1:5
	v_add_f32_e32 v14, v30, v22
	v_sub_f32_e32 v23, v18, v34
	v_add_f32_e32 v24, v12, v18
	v_add_f32_e32 v18, v18, v34
	;; [unrolled: 1-line block ×3, first 2 shown]
	v_sub_f32_e32 v13, v22, v26
	v_add_f32_e32 v19, v22, v26
	v_add_f32_e32 v22, v14, v26
	;; [unrolled: 1-line block ×3, first 2 shown]
	v_fmac_f32_e32 v12, -0.5, v18
	v_add_f32_e32 v8, v21, v25
	v_sub_f32_e32 v20, v21, v25
	v_add_f32_e32 v21, v7, v25
	v_add_f32_e32 v7, v11, v17
	v_sub_f32_e32 v17, v17, v33
	v_fma_f32 v11, -0.5, v14, v11
	v_mov_b32_e32 v14, v12
	v_fmac_f32_e32 v30, -0.5, v19
	v_fmac_f32_e32 v12, 0xbf5db3d7, v17
	v_fma_f32 v19, -0.5, v8, v29
	v_mov_b32_e32 v25, v30
	v_mov_b32_e32 v26, v11
	v_fmac_f32_e32 v14, 0x3f5db3d7, v17
	v_mul_f32_e32 v18, 0xbf5db3d7, v12
	v_fmac_f32_e32 v30, 0xbf5db3d7, v20
	v_fmac_f32_e32 v11, 0x3f5db3d7, v23
	v_mov_b32_e32 v28, v19
	v_fmac_f32_e32 v25, 0x3f5db3d7, v20
	v_fmac_f32_e32 v26, 0xbf5db3d7, v23
	v_mul_f32_e32 v20, 0xbf5db3d7, v14
	v_mul_f32_e32 v23, 0.5, v14
	v_mul_f32_e32 v12, -0.5, v12
	v_add_f32_e32 v27, v7, v33
	v_add_f32_e32 v24, v24, v34
	v_fmac_f32_e32 v28, 0xbf5db3d7, v13
	v_fmac_f32_e32 v19, 0x3f5db3d7, v13
	v_fmac_f32_e32 v20, 0.5, v26
	v_fmac_f32_e32 v18, -0.5, v11
	v_fmac_f32_e32 v23, 0x3f5db3d7, v26
	v_fmac_f32_e32 v12, 0x3f5db3d7, v11
	v_add_f32_e32 v13, v21, v27
	v_add_f32_e32 v7, v19, v18
	v_sub_f32_e32 v11, v19, v18
	v_add_f32_e32 v17, v28, v20
	v_add_f32_e32 v14, v22, v24
	;; [unrolled: 1-line block ×3, first 2 shown]
	v_sub_f32_e32 v19, v21, v27
	v_sub_f32_e32 v21, v28, v20
	;; [unrolled: 1-line block ×4, first 2 shown]
	v_mul_i32_i24_e32 v23, 6, v4
	v_lshl_add_u32 v29, v23, 3, v16
	v_add_f32_e32 v8, v30, v12
	v_sub_f32_e32 v12, v30, v12
	ds_write2_b64 v29, v[13:14], v[17:18] offset1:1
	ds_write2_b64 v29, v[7:8], v[19:20] offset0:2 offset1:3
	ds_write2_b64 v29, v[21:22], v[11:12] offset0:4 offset1:5
	v_mul_lo_u16_e32 v30, 43, v0
	v_mov_b32_e32 v7, 6
	s_movk_i32 s0, 0xab
	v_mul_lo_u16_sdwa v7, v30, v7 dst_sel:DWORD dst_unused:UNUSED_PAD src0_sel:BYTE_1 src1_sel:DWORD
	v_mul_lo_u16_sdwa v33, v4, s0 dst_sel:DWORD dst_unused:UNUSED_PAD src0_sel:BYTE_0 src1_sel:DWORD
	v_sub_u16_e32 v31, v0, v7
	v_lshrrev_b16_e32 v34, 10, v33
	v_mul_lo_u16_e32 v7, 3, v31
	v_mov_b32_e32 v32, 3
	v_mul_lo_u16_e32 v8, 6, v34
	v_lshlrev_b32_sdwa v7, v32, v7 dst_sel:DWORD dst_unused:UNUSED_PAD src0_sel:DWORD src1_sel:BYTE_0
	v_sub_u16_e32 v35, v4, v8
	s_waitcnt lgkmcnt(0)
	s_barrier
	global_load_dwordx4 v[11:14], v7, s[8:9]
	v_mul_u32_u24_sdwa v8, v35, v32 dst_sel:DWORD dst_unused:UNUSED_PAD src0_sel:BYTE_0 src1_sel:DWORD
	v_lshlrev_b32_e32 v36, 3, v8
	global_load_dwordx4 v[17:20], v36, s[8:9]
	ds_read2_b64 v[21:24], v5 offset0:96 offset1:128
	ds_read2_b64 v[25:28], v5 offset0:160 offset1:192
	v_mul_lo_u16_sdwa v43, v6, s0 dst_sel:DWORD dst_unused:UNUSED_PAD src0_sel:BYTE_0 src1_sel:DWORD
	v_lshrrev_b16_e32 v44, 10, v43
	global_load_dwordx2 v[7:8], v7, s[8:9] offset:16
	s_movk_i32 s0, 0xffd8
	v_lshrrev_b16_e32 v33, 12, v33
	s_waitcnt vmcnt(2) lgkmcnt(1)
	v_mul_f32_e32 v37, v12, v22
	v_mul_f32_e32 v12, v12, v21
	v_fmac_f32_e32 v37, v11, v21
	v_fma_f32 v38, v11, v22, -v12
	global_load_dwordx2 v[21:22], v36, s[8:9] offset:16
	s_waitcnt lgkmcnt(0)
	v_mul_f32_e32 v39, v14, v28
	v_mul_f32_e32 v11, v14, v27
	v_fmac_f32_e32 v39, v13, v27
	v_fma_f32 v27, v13, v28, -v11
	s_waitcnt vmcnt(2)
	v_mul_f32_e32 v11, v18, v23
	v_fma_f32 v40, v17, v24, -v11
	ds_read2_b64 v[11:14], v9 offset0:96 offset1:128
	v_mul_f32_e32 v36, v18, v24
	v_fmac_f32_e32 v36, v17, v23
	s_waitcnt lgkmcnt(0)
	v_mul_f32_e32 v41, v12, v20
	v_fmac_f32_e32 v41, v11, v19
	v_mul_f32_e32 v11, v11, v20
	v_fma_f32 v42, v12, v19, -v11
	v_mul_lo_u16_e32 v11, 6, v44
	v_sub_u16_e32 v45, v6, v11
	v_mul_u32_u24_sdwa v11, v45, v32 dst_sel:DWORD dst_unused:UNUSED_PAD src0_sel:BYTE_0 src1_sel:DWORD
	v_lshlrev_b32_e32 v11, 3, v11
	global_load_dwordx2 v[23:24], v11, s[8:9] offset:16
	global_load_dwordx4 v[17:20], v11, s[8:9]
	s_waitcnt vmcnt(0)
	v_mul_f32_e32 v11, v25, v18
	v_fma_f32 v47, v26, v17, -v11
	v_mul_f32_e32 v48, v14, v20
	v_mul_f32_e32 v11, v13, v20
	v_fmac_f32_e32 v48, v13, v19
	v_fma_f32 v49, v14, v19, -v11
	ds_read2_b64 v[11:14], v10 offset0:32 offset1:64
	v_mul_f32_e32 v46, v26, v18
	v_fmac_f32_e32 v46, v25, v17
	s_waitcnt lgkmcnt(0)
	v_mul_f32_e32 v17, v8, v12
	v_mul_f32_e32 v8, v8, v11
	v_fmac_f32_e32 v17, v7, v11
	v_fma_f32 v20, v7, v12, -v8
	v_mul_f32_e32 v7, v13, v22
	v_mul_f32_e32 v50, v14, v22
	v_fma_f32 v14, v14, v21, -v7
	ds_read_b64 v[7:8], v15
	v_sub_f32_e32 v17, v37, v17
	v_sub_f32_e32 v26, v38, v20
	v_fmac_f32_e32 v50, v13, v21
	v_mad_i32_i24 v11, v4, s0, v29
	s_waitcnt lgkmcnt(0)
	v_sub_f32_e32 v22, v7, v39
	v_sub_f32_e32 v28, v8, v27
	v_fma_f32 v21, v7, 2.0, -v22
	v_fma_f32 v25, v8, 2.0, -v28
	v_fma_f32 v7, v37, 2.0, -v17
	v_fma_f32 v8, v38, 2.0, -v26
	v_sub_f32_e32 v7, v21, v7
	v_sub_f32_e32 v8, v25, v8
	ds_read_b64 v[12:13], v5 offset:2816
	ds_read_b64 v[18:19], v11
	v_fma_f32 v20, v21, 2.0, -v7
	v_fma_f32 v21, v25, 2.0, -v8
	v_add_f32_e32 v25, v22, v26
	v_sub_f32_e32 v26, v28, v17
	v_mov_b32_e32 v17, 24
	v_mul_lo_u16_sdwa v17, v30, v17 dst_sel:DWORD dst_unused:UNUSED_PAD src0_sel:BYTE_1 src1_sel:DWORD
	v_fma_f32 v27, v22, 2.0, -v25
	v_or_b32_e32 v22, v17, v31
	v_and_b32_e32 v22, 0xff, v22
	v_fma_f32 v28, v28, 2.0, -v26
	v_lshl_add_u32 v17, v6, 3, v16
	v_lshl_add_u32 v22, v22, 3, v16
	ds_read_b64 v[29:30], v17
	s_waitcnt lgkmcnt(0)
	s_barrier
	ds_write2_b64 v22, v[20:21], v[27:28] offset1:6
	ds_write2_b64 v22, v[7:8], v[25:26] offset0:12 offset1:18
	v_sub_f32_e32 v22, v18, v41
	v_sub_f32_e32 v26, v19, v42
	;; [unrolled: 1-line block ×4, first 2 shown]
	v_fma_f32 v18, v18, 2.0, -v22
	v_fma_f32 v19, v19, 2.0, -v26
	;; [unrolled: 1-line block ×4, first 2 shown]
	v_add_f32_e32 v20, v22, v14
	v_mul_u32_u24_e32 v14, 24, v34
	v_sub_f32_e32 v7, v18, v7
	v_sub_f32_e32 v8, v19, v8
	v_sub_f32_e32 v21, v26, v21
	v_or_b32_sdwa v14, v14, v35 dst_sel:DWORD dst_unused:UNUSED_PAD src0_sel:DWORD src1_sel:BYTE_0
	v_fma_f32 v18, v18, 2.0, -v7
	v_fma_f32 v19, v19, 2.0, -v8
	;; [unrolled: 1-line block ×4, first 2 shown]
	v_lshl_add_u32 v14, v14, 3, v16
	ds_write2_b64 v14, v[18:19], v[25:26] offset1:6
	ds_write2_b64 v14, v[7:8], v[20:21] offset0:12 offset1:18
	v_mul_f32_e32 v8, v12, v24
	v_mul_f32_e32 v7, v13, v24
	v_fma_f32 v8, v13, v23, -v8
	v_fmac_f32_e32 v7, v12, v23
	v_sub_f32_e32 v14, v29, v48
	v_sub_f32_e32 v18, v47, v8
	;; [unrolled: 1-line block ×4, first 2 shown]
	v_fma_f32 v8, v47, 2.0, -v18
	v_add_f32_e32 v18, v14, v18
	v_fma_f32 v12, v29, 2.0, -v14
	v_fma_f32 v13, v30, 2.0, -v21
	;; [unrolled: 1-line block ×4, first 2 shown]
	v_mul_u32_u24_e32 v14, 24, v44
	v_sub_f32_e32 v7, v12, v7
	v_sub_f32_e32 v8, v13, v8
	;; [unrolled: 1-line block ×3, first 2 shown]
	v_or_b32_sdwa v14, v14, v45 dst_sel:DWORD dst_unused:UNUSED_PAD src0_sel:DWORD src1_sel:BYTE_0
	v_fma_f32 v12, v12, 2.0, -v7
	v_fma_f32 v13, v13, 2.0, -v8
	;; [unrolled: 1-line block ×3, first 2 shown]
	v_lshl_add_u32 v14, v14, 3, v16
	ds_write2_b64 v14, v[12:13], v[20:21] offset1:6
	ds_write2_b64 v14, v[7:8], v[18:19] offset0:12 offset1:18
	v_subrev_u32_e32 v7, 24, v0
	v_cmp_gt_u32_e64 s[0:1], 24, v0
	v_cndmask_b32_e64 v14, v7, v0, s[0:1]
	v_mul_i32_i24_e32 v7, 3, v14
	v_mov_b32_e32 v8, 0
	v_lshlrev_b64 v[12:13], 3, v[7:8]
	v_mov_b32_e32 v36, s9
	v_add_co_u32_e64 v12, s[0:1], s8, v12
	v_addc_co_u32_e64 v13, s[0:1], v36, v13, s[0:1]
	s_waitcnt lgkmcnt(0)
	s_barrier
	global_load_dwordx4 v[18:21], v[12:13], off offset:144
	ds_read2_b64 v[22:25], v5 offset0:96 offset1:128
	ds_read2_b64 v[26:29], v5 offset0:160 offset1:192
	global_load_dwordx2 v[12:13], v[12:13], off offset:160
	v_lshrrev_b16_e32 v41, 12, v43
	v_cmp_lt_u32_e64 s[0:1], 23, v0
	s_waitcnt vmcnt(1) lgkmcnt(1)
	v_mul_f32_e32 v7, v19, v23
	v_mul_f32_e32 v19, v19, v22
	v_fmac_f32_e32 v7, v18, v22
	v_fma_f32 v30, v18, v23, -v19
	s_waitcnt lgkmcnt(0)
	v_mul_f32_e32 v18, v21, v28
	v_fma_f32 v34, v20, v29, -v18
	v_mul_lo_u16_e32 v18, 24, v33
	v_sub_u16_e32 v35, v4, v18
	v_mul_u32_u24_sdwa v18, v35, v32 dst_sel:DWORD dst_unused:UNUSED_PAD src0_sel:BYTE_0 src1_sel:DWORD
	v_mul_f32_e32 v31, v21, v29
	v_lshlrev_b32_e32 v22, 3, v18
	v_fmac_f32_e32 v31, v20, v28
	global_load_dwordx4 v[18:21], v22, s[8:9] offset:144
	global_load_dwordx2 v[28:29], v22, s[8:9] offset:160
	s_waitcnt vmcnt(1)
	v_mul_f32_e32 v37, v19, v25
	v_mul_f32_e32 v19, v19, v24
	v_fmac_f32_e32 v37, v18, v24
	v_fma_f32 v38, v18, v25, -v19
	ds_read2_b64 v[22:25], v9 offset0:96 offset1:128
	s_waitcnt lgkmcnt(0)
	v_mul_f32_e32 v18, v21, v22
	v_fma_f32 v40, v20, v23, -v18
	v_mul_lo_u16_e32 v18, 24, v41
	v_sub_u16_e32 v42, v6, v18
	v_mul_u32_u24_sdwa v18, v42, v32 dst_sel:DWORD dst_unused:UNUSED_PAD src0_sel:BYTE_0 src1_sel:DWORD
	v_mul_f32_e32 v39, v21, v23
	v_lshlrev_b32_e32 v32, 3, v18
	v_fmac_f32_e32 v39, v20, v22
	global_load_dwordx2 v[22:23], v32, s[8:9] offset:160
	global_load_dwordx4 v[18:21], v32, s[8:9] offset:144
	s_waitcnt vmcnt(0)
	v_mul_f32_e32 v32, v27, v19
	v_mul_f32_e32 v19, v26, v19
	v_fmac_f32_e32 v32, v26, v18
	v_fma_f32 v43, v27, v18, -v19
	v_mul_f32_e32 v44, v25, v21
	v_mul_f32_e32 v18, v24, v21
	v_fmac_f32_e32 v44, v24, v20
	v_fma_f32 v45, v25, v20, -v18
	ds_read2_b64 v[18:21], v10 offset0:32 offset1:64
	s_waitcnt lgkmcnt(0)
	v_mul_f32_e32 v24, v13, v19
	v_mul_f32_e32 v13, v13, v18
	v_fmac_f32_e32 v24, v12, v18
	v_fma_f32 v25, v12, v19, -v13
	v_mul_f32_e32 v46, v21, v29
	v_mul_f32_e32 v12, v20, v29
	v_fmac_f32_e32 v46, v20, v28
	v_fma_f32 v47, v21, v28, -v12
	ds_read_b64 v[12:13], v15
	ds_read_b64 v[18:19], v5 offset:2816
	ds_read_b64 v[20:21], v11
	s_waitcnt lgkmcnt(2)
	v_sub_f32_e32 v28, v12, v31
	v_sub_f32_e32 v31, v7, v24
	;; [unrolled: 1-line block ×3, first 2 shown]
	v_fma_f32 v26, v12, 2.0, -v28
	v_sub_f32_e32 v34, v30, v25
	v_fma_f32 v7, v7, 2.0, -v31
	v_fma_f32 v27, v13, 2.0, -v29
	;; [unrolled: 1-line block ×3, first 2 shown]
	v_sub_f32_e32 v12, v26, v7
	v_mov_b32_e32 v7, 0x60
	v_sub_f32_e32 v13, v27, v13
	v_cndmask_b32_e64 v7, 0, v7, s[0:1]
	v_fma_f32 v24, v26, 2.0, -v12
	v_fma_f32 v25, v27, 2.0, -v13
	v_add_f32_e32 v26, v28, v34
	v_sub_f32_e32 v27, v29, v31
	v_or_b32_e32 v7, v7, v14
	v_fma_f32 v28, v28, 2.0, -v26
	v_fma_f32 v29, v29, 2.0, -v27
	v_lshl_add_u32 v7, v7, 3, v16
	ds_read_b64 v[30:31], v17
	s_waitcnt lgkmcnt(0)
	s_barrier
	ds_write2_b64 v7, v[24:25], v[28:29] offset1:24
	ds_write2_b64 v7, v[12:13], v[26:27] offset0:48 offset1:72
	v_sub_f32_e32 v7, v20, v39
	v_sub_f32_e32 v24, v38, v47
	;; [unrolled: 1-line block ×4, first 2 shown]
	v_fma_f32 v13, v38, 2.0, -v24
	v_add_f32_e32 v24, v7, v24
	v_fma_f32 v20, v20, 2.0, -v7
	v_fma_f32 v21, v21, 2.0, -v14
	;; [unrolled: 1-line block ×4, first 2 shown]
	v_mul_u32_u24_e32 v7, 0x60, v33
	v_sub_f32_e32 v12, v20, v12
	v_sub_f32_e32 v13, v21, v13
	;; [unrolled: 1-line block ×3, first 2 shown]
	v_or_b32_sdwa v7, v7, v35 dst_sel:DWORD dst_unused:UNUSED_PAD src0_sel:DWORD src1_sel:BYTE_0
	v_fma_f32 v20, v20, 2.0, -v12
	v_fma_f32 v21, v21, 2.0, -v13
	;; [unrolled: 1-line block ×3, first 2 shown]
	v_lshl_add_u32 v7, v7, 3, v16
	ds_write2_b64 v7, v[20:21], v[26:27] offset1:24
	ds_write2_b64 v7, v[12:13], v[24:25] offset0:48 offset1:72
	v_mul_f32_e32 v7, v19, v23
	v_mul_f32_e32 v12, v18, v23
	v_fmac_f32_e32 v7, v18, v22
	v_fma_f32 v12, v19, v22, -v12
	v_sub_f32_e32 v14, v30, v44
	v_sub_f32_e32 v23, v31, v45
	;; [unrolled: 1-line block ×4, first 2 shown]
	v_fma_f32 v18, v30, 2.0, -v14
	v_fma_f32 v19, v31, 2.0, -v23
	;; [unrolled: 1-line block ×4, first 2 shown]
	v_sub_f32_e32 v21, v23, v7
	v_mul_u32_u24_e32 v7, 0x60, v41
	v_sub_f32_e32 v12, v18, v12
	v_sub_f32_e32 v13, v19, v13
	v_add_f32_e32 v20, v14, v20
	v_or_b32_sdwa v7, v7, v42 dst_sel:DWORD dst_unused:UNUSED_PAD src0_sel:DWORD src1_sel:BYTE_0
	v_fma_f32 v18, v18, 2.0, -v12
	v_fma_f32 v19, v19, 2.0, -v13
	;; [unrolled: 1-line block ×4, first 2 shown]
	v_lshl_add_u32 v7, v7, 3, v16
	ds_write2_b64 v7, v[18:19], v[22:23] offset1:24
	ds_write2_b64 v7, v[12:13], v[20:21] offset0:48 offset1:72
	v_mul_u32_u24_e32 v7, 3, v0
	v_lshlrev_b32_e32 v14, 3, v7
	s_waitcnt lgkmcnt(0)
	s_barrier
	global_load_dwordx4 v[18:21], v14, s[8:9] offset:720
	v_mul_i32_i24_e32 v7, 3, v4
	v_lshlrev_b64 v[12:13], 3, v[7:8]
	v_add_co_u32_e64 v12, s[0:1], s8, v12
	v_addc_co_u32_e64 v13, s[0:1], v36, v13, s[0:1]
	global_load_dwordx4 v[22:25], v[12:13], off offset:720
	ds_read2_b64 v[26:29], v5 offset0:96 offset1:128
	ds_read2_b64 v[30:33], v5 offset0:160 offset1:192
	global_load_dwordx2 v[34:35], v14, s[8:9] offset:736
	s_waitcnt vmcnt(2) lgkmcnt(1)
	v_mul_f32_e32 v7, v19, v26
	global_load_dwordx2 v[12:13], v[12:13], off offset:736
	v_mul_f32_e32 v37, v19, v27
	v_fma_f32 v38, v18, v27, -v7
	s_waitcnt lgkmcnt(0)
	v_mul_f32_e32 v39, v21, v33
	v_mul_f32_e32 v7, v21, v32
	v_fmac_f32_e32 v37, v18, v26
	v_fmac_f32_e32 v39, v20, v32
	v_fma_f32 v32, v20, v33, -v7
	ds_read2_b64 v[18:21], v9 offset0:96 offset1:128
	s_waitcnt vmcnt(2)
	v_mul_f32_e32 v7, v23, v28
	v_fma_f32 v40, v22, v29, -v7
	v_mul_f32_e32 v33, v23, v29
	v_fmac_f32_e32 v33, v22, v28
	s_waitcnt lgkmcnt(0)
	v_mul_f32_e32 v7, v25, v18
	v_mul_f32_e32 v41, v25, v19
	v_fma_f32 v42, v24, v19, -v7
	v_mul_i32_i24_e32 v7, 3, v6
	v_fmac_f32_e32 v41, v24, v18
	v_lshlrev_b64 v[18:19], 3, v[7:8]
	v_add_co_u32_e64 v18, s[0:1], s8, v18
	v_addc_co_u32_e64 v19, s[0:1], v36, v19, s[0:1]
	global_load_dwordx4 v[22:25], v[18:19], off offset:720
	global_load_dwordx2 v[26:27], v[18:19], off offset:736
	v_cmp_ne_u32_e64 s[0:1], 0, v0
	s_waitcnt vmcnt(1)
	v_mul_f32_e32 v14, v30, v23
	v_fma_f32 v36, v31, v22, -v14
	v_mul_f32_e32 v43, v21, v25
	v_mul_f32_e32 v14, v20, v25
	v_fmac_f32_e32 v43, v20, v24
	v_fma_f32 v44, v21, v24, -v14
	ds_read2_b64 v[18:21], v10 offset0:32 offset1:64
	v_mul_f32_e32 v7, v31, v23
	v_fmac_f32_e32 v7, v30, v22
	s_waitcnt lgkmcnt(0)
	v_mul_f32_e32 v10, v35, v19
	v_mul_f32_e32 v14, v35, v18
	v_fmac_f32_e32 v10, v34, v18
	v_fma_f32 v24, v34, v19, -v14
	v_mul_f32_e32 v34, v21, v13
	v_mul_f32_e32 v18, v20, v13
	ds_read_b64 v[13:14], v15
	v_fmac_f32_e32 v34, v20, v12
	v_fma_f32 v35, v21, v12, -v18
	ds_read_b64 v[18:19], v5 offset:2816
	ds_read_b64 v[20:21], v17
	ds_read_b64 v[22:23], v11
	v_sub_f32_e32 v10, v37, v10
	s_waitcnt lgkmcnt(3)
	v_sub_f32_e32 v30, v13, v39
	v_sub_f32_e32 v31, v14, v32
	;; [unrolled: 1-line block ×3, first 2 shown]
	v_fma_f32 v25, v13, 2.0, -v30
	v_fma_f32 v14, v14, 2.0, -v31
	;; [unrolled: 1-line block ×4, first 2 shown]
	v_sub_f32_e32 v12, v25, v12
	v_sub_f32_e32 v13, v14, v13
	v_add_f32_e32 v28, v30, v28
	v_sub_f32_e32 v29, v31, v10
	v_fma_f32 v24, v25, 2.0, -v12
	v_fma_f32 v25, v14, 2.0, -v13
	v_fma_f32 v30, v30, 2.0, -v28
	v_fma_f32 v31, v31, 2.0, -v29
	s_waitcnt vmcnt(0) lgkmcnt(0)
	s_barrier
	ds_write2_b64 v5, v[24:25], v[30:31] offset1:96
	ds_write2_b64 v9, v[12:13], v[28:29] offset0:64 offset1:160
	v_mul_f32_e32 v5, v19, v27
	v_mul_f32_e32 v9, v18, v27
	v_fmac_f32_e32 v5, v18, v26
	v_fma_f32 v14, v19, v26, -v9
	v_sub_f32_e32 v24, v22, v41
	v_sub_f32_e32 v25, v23, v42
	;; [unrolled: 1-line block ×4, first 2 shown]
	v_fma_f32 v12, v22, 2.0, -v24
	v_fma_f32 v13, v23, 2.0, -v25
	;; [unrolled: 1-line block ×4, first 2 shown]
	v_sub_f32_e32 v9, v12, v9
	v_sub_f32_e32 v10, v13, v10
	v_add_f32_e32 v18, v24, v18
	v_sub_f32_e32 v19, v25, v19
	v_fma_f32 v12, v12, 2.0, -v9
	v_fma_f32 v13, v13, 2.0, -v10
	;; [unrolled: 1-line block ×4, first 2 shown]
	v_sub_f32_e32 v24, v20, v43
	v_sub_f32_e32 v25, v21, v44
	;; [unrolled: 1-line block ×4, first 2 shown]
	ds_write2_b64 v11, v[12:13], v[22:23] offset1:96
	v_fma_f32 v20, v20, 2.0, -v24
	v_fma_f32 v21, v21, 2.0, -v25
	;; [unrolled: 1-line block ×4, first 2 shown]
	v_sub_f32_e32 v12, v20, v7
	v_sub_f32_e32 v13, v21, v13
	v_add_f32_e32 v22, v24, v14
	v_sub_f32_e32 v23, v25, v5
	v_add_u32_e32 v5, 0x400, v11
	v_fma_f32 v20, v20, 2.0, -v12
	v_fma_f32 v21, v21, 2.0, -v13
	;; [unrolled: 1-line block ×4, first 2 shown]
	ds_write2_b64 v5, v[9:10], v[18:19] offset0:64 offset1:160
	ds_write2_b64 v17, v[20:21], v[24:25] offset1:96
	v_add_u32_e32 v5, 0x400, v17
	ds_write2_b64 v5, v[12:13], v[22:23] offset0:64 offset1:160
	s_waitcnt lgkmcnt(0)
	s_barrier
	ds_read_b64 v[13:14], v15
	v_sub_u32_e32 v18, v16, v1
                                        ; implicit-def: $vgpr9
                                        ; implicit-def: $vgpr19
                                        ; implicit-def: $vgpr20
                                        ; implicit-def: $vgpr11_vgpr12
	s_and_saveexec_b64 s[4:5], s[0:1]
	s_xor_b64 s[0:1], exec, s[4:5]
	s_cbranch_execz .LBB0_15
; %bb.14:
	global_load_dwordx2 v[9:10], v1, s[8:9] offset:3024
	ds_read_b64 v[11:12], v18 offset:3072
	v_mov_b32_e32 v1, v8
	s_waitcnt lgkmcnt(0)
	v_sub_f32_e32 v8, v13, v11
	v_add_f32_e32 v5, v11, v13
	v_add_f32_e32 v7, v12, v14
	v_sub_f32_e32 v11, v14, v12
	v_mul_f32_e32 v8, 0.5, v8
	v_mul_f32_e32 v7, 0.5, v7
	;; [unrolled: 1-line block ×3, first 2 shown]
	s_waitcnt vmcnt(0)
	v_mul_f32_e32 v12, v10, v8
	v_fma_f32 v13, v7, v10, v11
	v_fma_f32 v10, v7, v10, -v11
	v_fma_f32 v19, 0.5, v5, v12
	v_fma_f32 v5, v5, 0.5, -v12
	v_mov_b32_e32 v12, v1
	v_fma_f32 v20, -v9, v8, v13
	v_fma_f32 v10, -v9, v8, v10
	v_fmac_f32_e32 v19, v9, v7
	v_fma_f32 v9, -v9, v7, v5
	v_mov_b32_e32 v11, v0
                                        ; implicit-def: $vgpr13_vgpr14
.LBB0_15:
	s_andn2_saveexec_b64 s[0:1], s[0:1]
	s_cbranch_execz .LBB0_17
; %bb.16:
	ds_read_b32 v1, v16 offset:1540
	v_mov_b32_e32 v11, 0
	s_waitcnt lgkmcnt(1)
	v_add_f32_e32 v19, v13, v14
	v_sub_f32_e32 v9, v13, v14
	v_mov_b32_e32 v12, 0
	v_mov_b32_e32 v20, 0
	s_waitcnt lgkmcnt(0)
	v_xor_b32_e32 v1, 0x80000000, v1
	v_mov_b32_e32 v10, 0
	ds_write_b32 v16, v1 offset:1540
.LBB0_17:
	s_or_b64 exec, exec, s[0:1]
	v_mov_b32_e32 v5, 0
	v_lshlrev_b64 v[7:8], 3, v[4:5]
	v_mov_b32_e32 v1, s9
	v_add_co_u32_e64 v7, s[0:1], s8, v7
	v_addc_co_u32_e64 v8, s[0:1], v1, v8, s[0:1]
	s_waitcnt lgkmcnt(0)
	global_load_dwordx2 v[13:14], v[7:8], off offset:3024
	v_mov_b32_e32 v7, v5
	v_lshlrev_b64 v[5:6], 3, v[6:7]
	v_add_co_u32_e64 v5, s[0:1], s8, v5
	v_addc_co_u32_e64 v6, s[0:1], v1, v6, s[0:1]
	global_load_dwordx2 v[7:8], v[5:6], off offset:3024
	s_add_u32 s0, s8, 0xbd0
	v_lshlrev_b64 v[5:6], 3, v[11:12]
	s_addc_u32 s1, s9, 0
	v_mov_b32_e32 v1, s1
	v_add_co_u32_e64 v11, s[0:1], s0, v5
	v_addc_co_u32_e64 v12, s[0:1], v1, v6, s[0:1]
	global_load_dwordx2 v[21:22], v[11:12], off offset:768
	ds_write2_b32 v15, v19, v20 offset1:1
	ds_write_b64 v18, v[9:10] offset:3072
	v_lshl_add_u32 v1, v4, 3, v16
	ds_read_b64 v[9:10], v1
	ds_read_b64 v[19:20], v18 offset:2816
	global_load_dwordx2 v[23:24], v[11:12], off offset:1024
	s_waitcnt lgkmcnt(0)
	v_add_f32_e32 v4, v9, v19
	v_sub_f32_e32 v9, v9, v19
	v_add_f32_e32 v16, v10, v20
	v_sub_f32_e32 v10, v10, v20
	v_mul_f32_e32 v9, 0.5, v9
	v_mul_f32_e32 v16, 0.5, v16
	;; [unrolled: 1-line block ×3, first 2 shown]
	s_waitcnt vmcnt(3)
	v_mul_f32_e32 v19, v14, v9
	v_fma_f32 v20, v16, v14, v10
	v_fma_f32 v10, v16, v14, -v10
	v_fma_f32 v14, 0.5, v4, v19
	v_fma_f32 v20, -v13, v9, v20
	v_fma_f32 v4, v4, 0.5, -v19
	v_fmac_f32_e32 v14, v13, v16
	v_fma_f32 v10, -v13, v9, v10
	v_fma_f32 v9, -v13, v16, v4
	ds_write2_b32 v1, v14, v20 offset1:1
	ds_write_b64 v18, v[9:10] offset:2816
	ds_read_b64 v[9:10], v17
	ds_read_b64 v[13:14], v18 offset:2560
	global_load_dwordx2 v[11:12], v[11:12], off offset:1280
	s_waitcnt lgkmcnt(0)
	v_add_f32_e32 v1, v9, v13
	v_sub_f32_e32 v9, v9, v13
	v_add_f32_e32 v4, v10, v14
	v_sub_f32_e32 v10, v10, v14
	v_mul_f32_e32 v9, 0.5, v9
	v_mul_f32_e32 v4, 0.5, v4
	;; [unrolled: 1-line block ×3, first 2 shown]
	s_waitcnt vmcnt(3)
	v_mul_f32_e32 v13, v8, v9
	v_fma_f32 v14, v4, v8, v10
	v_fma_f32 v8, v4, v8, -v10
	v_fma_f32 v10, 0.5, v1, v13
	v_fma_f32 v14, -v7, v9, v14
	v_fma_f32 v1, v1, 0.5, -v13
	v_fmac_f32_e32 v10, v7, v4
	v_fma_f32 v8, -v7, v9, v8
	v_fma_f32 v7, -v7, v4, v1
	ds_write2_b32 v17, v10, v14 offset1:1
	ds_write_b64 v18, v[7:8] offset:2560
	ds_read_b64 v[7:8], v15 offset:768
	ds_read_b64 v[9:10], v18 offset:2304
	s_waitcnt lgkmcnt(0)
	v_add_f32_e32 v1, v7, v9
	v_sub_f32_e32 v7, v7, v9
	v_add_f32_e32 v4, v8, v10
	v_sub_f32_e32 v8, v8, v10
	v_mul_f32_e32 v7, 0.5, v7
	v_mul_f32_e32 v4, 0.5, v4
	;; [unrolled: 1-line block ×3, first 2 shown]
	s_waitcnt vmcnt(2)
	v_mul_f32_e32 v9, v22, v7
	v_fma_f32 v10, v4, v22, v8
	v_fma_f32 v13, 0.5, v1, v9
	v_fma_f32 v8, v4, v22, -v8
	v_fma_f32 v10, -v21, v7, v10
	v_fma_f32 v1, v1, 0.5, -v9
	v_fmac_f32_e32 v13, v21, v4
	v_fma_f32 v8, -v21, v7, v8
	v_fma_f32 v7, -v21, v4, v1
	ds_write2_b32 v15, v13, v10 offset0:192 offset1:193
	ds_write_b64 v18, v[7:8] offset:2304
	ds_read_b64 v[7:8], v15 offset:1024
	ds_read_b64 v[9:10], v18 offset:2048
	v_add_u32_e32 v1, 0x400, v15
	s_waitcnt lgkmcnt(0)
	v_add_f32_e32 v4, v7, v9
	v_sub_f32_e32 v7, v7, v9
	v_add_f32_e32 v13, v8, v10
	v_sub_f32_e32 v8, v8, v10
	v_mul_f32_e32 v7, 0.5, v7
	v_mul_f32_e32 v9, 0.5, v13
	;; [unrolled: 1-line block ×3, first 2 shown]
	s_waitcnt vmcnt(1)
	v_mul_f32_e32 v10, v24, v7
	v_fma_f32 v13, v9, v24, v8
	v_fma_f32 v14, 0.5, v4, v10
	v_fma_f32 v8, v9, v24, -v8
	v_fma_f32 v13, -v23, v7, v13
	v_fma_f32 v4, v4, 0.5, -v10
	v_fmac_f32_e32 v14, v23, v9
	v_fma_f32 v8, -v23, v7, v8
	v_fma_f32 v7, -v23, v9, v4
	ds_write2_b32 v1, v14, v13 offset1:1
	ds_write_b64 v18, v[7:8] offset:2048
	ds_read_b64 v[7:8], v15 offset:1280
	ds_read_b64 v[9:10], v18 offset:1792
	s_waitcnt lgkmcnt(0)
	v_add_f32_e32 v4, v7, v9
	v_sub_f32_e32 v7, v7, v9
	v_add_f32_e32 v13, v8, v10
	v_sub_f32_e32 v8, v8, v10
	v_mul_f32_e32 v7, 0.5, v7
	v_mul_f32_e32 v9, 0.5, v13
	;; [unrolled: 1-line block ×3, first 2 shown]
	s_waitcnt vmcnt(0)
	v_mul_f32_e32 v10, v12, v7
	v_fma_f32 v13, v9, v12, v8
	v_fma_f32 v8, v9, v12, -v8
	v_fma_f32 v12, 0.5, v4, v10
	v_fma_f32 v13, -v11, v7, v13
	v_fma_f32 v4, v4, 0.5, -v10
	v_fmac_f32_e32 v12, v11, v9
	v_fma_f32 v8, -v11, v7, v8
	v_fma_f32 v7, -v11, v9, v4
	ds_write2_b32 v1, v12, v13 offset0:64 offset1:65
	ds_write_b64 v18, v[7:8] offset:1792
	s_waitcnt lgkmcnt(0)
	s_barrier
	s_and_saveexec_b64 s[0:1], vcc
	s_cbranch_execz .LBB0_20
; %bb.18:
	ds_read2_b64 v[7:10], v15 offset1:32
	v_mov_b32_e32 v4, s3
	v_add_co_u32_e32 v1, vcc, s2, v2
	v_addc_co_u32_e32 v2, vcc, v4, v3, vcc
	ds_read2_b64 v[11:14], v15 offset0:64 offset1:96
	v_add_co_u32_e32 v16, vcc, v1, v5
	v_addc_co_u32_e32 v17, vcc, v2, v6, vcc
	ds_read2_b64 v[3:6], v15 offset0:128 offset1:160
	s_waitcnt lgkmcnt(2)
	global_store_dwordx2 v[16:17], v[7:8], off
	global_store_dwordx2 v[16:17], v[9:10], off offset:256
	s_waitcnt lgkmcnt(1)
	global_store_dwordx2 v[16:17], v[11:12], off offset:512
	global_store_dwordx2 v[16:17], v[13:14], off offset:768
	s_waitcnt lgkmcnt(0)
	global_store_dwordx2 v[16:17], v[3:4], off offset:1024
	ds_read2_b64 v[7:10], v15 offset0:192 offset1:224
	v_add_u32_e32 v3, 0x800, v15
	ds_read2_b64 v[11:14], v3 offset1:32
	global_store_dwordx2 v[16:17], v[5:6], off offset:1280
	ds_read2_b64 v[3:6], v3 offset0:64 offset1:96
	v_cmp_eq_u32_e32 vcc, 31, v0
	s_waitcnt lgkmcnt(2)
	global_store_dwordx2 v[16:17], v[7:8], off offset:1536
	global_store_dwordx2 v[16:17], v[9:10], off offset:1792
	s_waitcnt lgkmcnt(1)
	global_store_dwordx2 v[16:17], v[11:12], off offset:2048
	global_store_dwordx2 v[16:17], v[13:14], off offset:2304
	;; [unrolled: 3-line block ×3, first 2 shown]
	s_and_b64 exec, exec, vcc
	s_cbranch_execz .LBB0_20
; %bb.19:
	ds_read_b64 v[3:4], v15 offset:2824
	s_waitcnt lgkmcnt(0)
	global_store_dwordx2 v[1:2], v[3:4], off offset:3072
.LBB0_20:
	s_endpgm
	.section	.rodata,"a",@progbits
	.p2align	6, 0x0
	.amdhsa_kernel fft_rtc_back_len384_factors_6_4_4_4_wgs_128_tpt_32_halfLds_sp_ip_CI_unitstride_sbrr_R2C_dirReg
		.amdhsa_group_segment_fixed_size 0
		.amdhsa_private_segment_fixed_size 0
		.amdhsa_kernarg_size 88
		.amdhsa_user_sgpr_count 6
		.amdhsa_user_sgpr_private_segment_buffer 1
		.amdhsa_user_sgpr_dispatch_ptr 0
		.amdhsa_user_sgpr_queue_ptr 0
		.amdhsa_user_sgpr_kernarg_segment_ptr 1
		.amdhsa_user_sgpr_dispatch_id 0
		.amdhsa_user_sgpr_flat_scratch_init 0
		.amdhsa_user_sgpr_private_segment_size 0
		.amdhsa_uses_dynamic_stack 0
		.amdhsa_system_sgpr_private_segment_wavefront_offset 0
		.amdhsa_system_sgpr_workgroup_id_x 1
		.amdhsa_system_sgpr_workgroup_id_y 0
		.amdhsa_system_sgpr_workgroup_id_z 0
		.amdhsa_system_sgpr_workgroup_info 0
		.amdhsa_system_vgpr_workitem_id 0
		.amdhsa_next_free_vgpr 51
		.amdhsa_next_free_sgpr 22
		.amdhsa_reserve_vcc 1
		.amdhsa_reserve_flat_scratch 0
		.amdhsa_float_round_mode_32 0
		.amdhsa_float_round_mode_16_64 0
		.amdhsa_float_denorm_mode_32 3
		.amdhsa_float_denorm_mode_16_64 3
		.amdhsa_dx10_clamp 1
		.amdhsa_ieee_mode 1
		.amdhsa_fp16_overflow 0
		.amdhsa_exception_fp_ieee_invalid_op 0
		.amdhsa_exception_fp_denorm_src 0
		.amdhsa_exception_fp_ieee_div_zero 0
		.amdhsa_exception_fp_ieee_overflow 0
		.amdhsa_exception_fp_ieee_underflow 0
		.amdhsa_exception_fp_ieee_inexact 0
		.amdhsa_exception_int_div_zero 0
	.end_amdhsa_kernel
	.text
.Lfunc_end0:
	.size	fft_rtc_back_len384_factors_6_4_4_4_wgs_128_tpt_32_halfLds_sp_ip_CI_unitstride_sbrr_R2C_dirReg, .Lfunc_end0-fft_rtc_back_len384_factors_6_4_4_4_wgs_128_tpt_32_halfLds_sp_ip_CI_unitstride_sbrr_R2C_dirReg
                                        ; -- End function
	.section	.AMDGPU.csdata,"",@progbits
; Kernel info:
; codeLenInByte = 5888
; NumSgprs: 26
; NumVgprs: 51
; ScratchSize: 0
; MemoryBound: 0
; FloatMode: 240
; IeeeMode: 1
; LDSByteSize: 0 bytes/workgroup (compile time only)
; SGPRBlocks: 3
; VGPRBlocks: 12
; NumSGPRsForWavesPerEU: 26
; NumVGPRsForWavesPerEU: 51
; Occupancy: 4
; WaveLimiterHint : 1
; COMPUTE_PGM_RSRC2:SCRATCH_EN: 0
; COMPUTE_PGM_RSRC2:USER_SGPR: 6
; COMPUTE_PGM_RSRC2:TRAP_HANDLER: 0
; COMPUTE_PGM_RSRC2:TGID_X_EN: 1
; COMPUTE_PGM_RSRC2:TGID_Y_EN: 0
; COMPUTE_PGM_RSRC2:TGID_Z_EN: 0
; COMPUTE_PGM_RSRC2:TIDIG_COMP_CNT: 0
	.type	__hip_cuid_9134043c5f4b1ec7,@object ; @__hip_cuid_9134043c5f4b1ec7
	.section	.bss,"aw",@nobits
	.globl	__hip_cuid_9134043c5f4b1ec7
__hip_cuid_9134043c5f4b1ec7:
	.byte	0                               ; 0x0
	.size	__hip_cuid_9134043c5f4b1ec7, 1

	.ident	"AMD clang version 19.0.0git (https://github.com/RadeonOpenCompute/llvm-project roc-6.4.0 25133 c7fe45cf4b819c5991fe208aaa96edf142730f1d)"
	.section	".note.GNU-stack","",@progbits
	.addrsig
	.addrsig_sym __hip_cuid_9134043c5f4b1ec7
	.amdgpu_metadata
---
amdhsa.kernels:
  - .args:
      - .actual_access:  read_only
        .address_space:  global
        .offset:         0
        .size:           8
        .value_kind:     global_buffer
      - .offset:         8
        .size:           8
        .value_kind:     by_value
      - .actual_access:  read_only
        .address_space:  global
        .offset:         16
        .size:           8
        .value_kind:     global_buffer
      - .actual_access:  read_only
        .address_space:  global
        .offset:         24
        .size:           8
        .value_kind:     global_buffer
      - .offset:         32
        .size:           8
        .value_kind:     by_value
      - .actual_access:  read_only
        .address_space:  global
        .offset:         40
        .size:           8
        .value_kind:     global_buffer
      - .actual_access:  read_only
        .address_space:  global
        .offset:         48
        .size:           8
        .value_kind:     global_buffer
      - .offset:         56
        .size:           4
        .value_kind:     by_value
      - .actual_access:  read_only
        .address_space:  global
        .offset:         64
        .size:           8
        .value_kind:     global_buffer
      - .actual_access:  read_only
        .address_space:  global
        .offset:         72
        .size:           8
        .value_kind:     global_buffer
      - .address_space:  global
        .offset:         80
        .size:           8
        .value_kind:     global_buffer
    .group_segment_fixed_size: 0
    .kernarg_segment_align: 8
    .kernarg_segment_size: 88
    .language:       OpenCL C
    .language_version:
      - 2
      - 0
    .max_flat_workgroup_size: 128
    .name:           fft_rtc_back_len384_factors_6_4_4_4_wgs_128_tpt_32_halfLds_sp_ip_CI_unitstride_sbrr_R2C_dirReg
    .private_segment_fixed_size: 0
    .sgpr_count:     26
    .sgpr_spill_count: 0
    .symbol:         fft_rtc_back_len384_factors_6_4_4_4_wgs_128_tpt_32_halfLds_sp_ip_CI_unitstride_sbrr_R2C_dirReg.kd
    .uniform_work_group_size: 1
    .uses_dynamic_stack: false
    .vgpr_count:     51
    .vgpr_spill_count: 0
    .wavefront_size: 64
amdhsa.target:   amdgcn-amd-amdhsa--gfx906
amdhsa.version:
  - 1
  - 2
...

	.end_amdgpu_metadata
